;; amdgpu-corpus repo=ROCm/rocFFT kind=compiled arch=gfx906 opt=O3
	.text
	.amdgcn_target "amdgcn-amd-amdhsa--gfx906"
	.amdhsa_code_object_version 6
	.protected	fft_rtc_fwd_len1715_factors_5_7_7_7_wgs_245_tpt_245_halfLds_sp_ip_CI_sbrr_dirReg ; -- Begin function fft_rtc_fwd_len1715_factors_5_7_7_7_wgs_245_tpt_245_halfLds_sp_ip_CI_sbrr_dirReg
	.globl	fft_rtc_fwd_len1715_factors_5_7_7_7_wgs_245_tpt_245_halfLds_sp_ip_CI_sbrr_dirReg
	.p2align	8
	.type	fft_rtc_fwd_len1715_factors_5_7_7_7_wgs_245_tpt_245_halfLds_sp_ip_CI_sbrr_dirReg,@function
fft_rtc_fwd_len1715_factors_5_7_7_7_wgs_245_tpt_245_halfLds_sp_ip_CI_sbrr_dirReg: ; @fft_rtc_fwd_len1715_factors_5_7_7_7_wgs_245_tpt_245_halfLds_sp_ip_CI_sbrr_dirReg
; %bb.0:
	s_load_dwordx2 s[14:15], s[4:5], 0x18
	s_load_dwordx4 s[8:11], s[4:5], 0x0
	s_load_dwordx2 s[12:13], s[4:5], 0x50
	v_mul_u32_u24_e32 v1, 0x10c, v0
	v_add_u32_sdwa v5, s6, v1 dst_sel:DWORD dst_unused:UNUSED_PAD src0_sel:DWORD src1_sel:WORD_1
	s_waitcnt lgkmcnt(0)
	s_load_dwordx2 s[2:3], s[14:15], 0x0
	v_cmp_lt_u64_e64 s[0:1], s[10:11], 2
	v_mov_b32_e32 v3, 0
	v_mov_b32_e32 v1, 0
	;; [unrolled: 1-line block ×3, first 2 shown]
	s_and_b64 vcc, exec, s[0:1]
	v_mov_b32_e32 v2, 0
	s_cbranch_vccnz .LBB0_8
; %bb.1:
	s_load_dwordx2 s[0:1], s[4:5], 0x10
	s_add_u32 s6, s14, 8
	s_addc_u32 s7, s15, 0
	v_mov_b32_e32 v1, 0
	v_mov_b32_e32 v2, 0
	s_waitcnt lgkmcnt(0)
	s_add_u32 s16, s0, 8
	s_addc_u32 s17, s1, 0
	s_mov_b64 s[18:19], 1
.LBB0_2:                                ; =>This Inner Loop Header: Depth=1
	s_load_dwordx2 s[20:21], s[16:17], 0x0
                                        ; implicit-def: $vgpr7_vgpr8
	s_waitcnt lgkmcnt(0)
	v_or_b32_e32 v4, s21, v6
	v_cmp_ne_u64_e32 vcc, 0, v[3:4]
	s_and_saveexec_b64 s[0:1], vcc
	s_xor_b64 s[22:23], exec, s[0:1]
	s_cbranch_execz .LBB0_4
; %bb.3:                                ;   in Loop: Header=BB0_2 Depth=1
	v_cvt_f32_u32_e32 v4, s20
	v_cvt_f32_u32_e32 v7, s21
	s_sub_u32 s0, 0, s20
	s_subb_u32 s1, 0, s21
	v_mac_f32_e32 v4, 0x4f800000, v7
	v_rcp_f32_e32 v4, v4
	v_mul_f32_e32 v4, 0x5f7ffffc, v4
	v_mul_f32_e32 v7, 0x2f800000, v4
	v_trunc_f32_e32 v7, v7
	v_mac_f32_e32 v4, 0xcf800000, v7
	v_cvt_u32_f32_e32 v7, v7
	v_cvt_u32_f32_e32 v4, v4
	v_mul_lo_u32 v8, s0, v7
	v_mul_hi_u32 v9, s0, v4
	v_mul_lo_u32 v11, s1, v4
	v_mul_lo_u32 v10, s0, v4
	v_add_u32_e32 v8, v9, v8
	v_add_u32_e32 v8, v8, v11
	v_mul_hi_u32 v9, v4, v10
	v_mul_lo_u32 v11, v4, v8
	v_mul_hi_u32 v13, v4, v8
	v_mul_hi_u32 v12, v7, v10
	v_mul_lo_u32 v10, v7, v10
	v_mul_hi_u32 v14, v7, v8
	v_add_co_u32_e32 v9, vcc, v9, v11
	v_addc_co_u32_e32 v11, vcc, 0, v13, vcc
	v_mul_lo_u32 v8, v7, v8
	v_add_co_u32_e32 v9, vcc, v9, v10
	v_addc_co_u32_e32 v9, vcc, v11, v12, vcc
	v_addc_co_u32_e32 v10, vcc, 0, v14, vcc
	v_add_co_u32_e32 v8, vcc, v9, v8
	v_addc_co_u32_e32 v9, vcc, 0, v10, vcc
	v_add_co_u32_e32 v4, vcc, v4, v8
	v_addc_co_u32_e32 v7, vcc, v7, v9, vcc
	v_mul_lo_u32 v8, s0, v7
	v_mul_hi_u32 v9, s0, v4
	v_mul_lo_u32 v10, s1, v4
	v_mul_lo_u32 v11, s0, v4
	v_add_u32_e32 v8, v9, v8
	v_add_u32_e32 v8, v8, v10
	v_mul_lo_u32 v12, v4, v8
	v_mul_hi_u32 v13, v4, v11
	v_mul_hi_u32 v14, v4, v8
	;; [unrolled: 1-line block ×3, first 2 shown]
	v_mul_lo_u32 v11, v7, v11
	v_mul_hi_u32 v9, v7, v8
	v_add_co_u32_e32 v12, vcc, v13, v12
	v_addc_co_u32_e32 v13, vcc, 0, v14, vcc
	v_mul_lo_u32 v8, v7, v8
	v_add_co_u32_e32 v11, vcc, v12, v11
	v_addc_co_u32_e32 v10, vcc, v13, v10, vcc
	v_addc_co_u32_e32 v9, vcc, 0, v9, vcc
	v_add_co_u32_e32 v8, vcc, v10, v8
	v_addc_co_u32_e32 v9, vcc, 0, v9, vcc
	v_add_co_u32_e32 v4, vcc, v4, v8
	v_addc_co_u32_e32 v9, vcc, v7, v9, vcc
	v_mad_u64_u32 v[7:8], s[0:1], v5, v9, 0
	v_mul_hi_u32 v10, v5, v4
	v_add_co_u32_e32 v11, vcc, v10, v7
	v_addc_co_u32_e32 v12, vcc, 0, v8, vcc
	v_mad_u64_u32 v[7:8], s[0:1], v6, v4, 0
	v_mad_u64_u32 v[9:10], s[0:1], v6, v9, 0
	v_add_co_u32_e32 v4, vcc, v11, v7
	v_addc_co_u32_e32 v4, vcc, v12, v8, vcc
	v_addc_co_u32_e32 v7, vcc, 0, v10, vcc
	v_add_co_u32_e32 v4, vcc, v4, v9
	v_addc_co_u32_e32 v9, vcc, 0, v7, vcc
	v_mul_lo_u32 v10, s21, v4
	v_mul_lo_u32 v11, s20, v9
	v_mad_u64_u32 v[7:8], s[0:1], s20, v4, 0
	v_add3_u32 v8, v8, v11, v10
	v_sub_u32_e32 v10, v6, v8
	v_mov_b32_e32 v11, s21
	v_sub_co_u32_e32 v7, vcc, v5, v7
	v_subb_co_u32_e64 v10, s[0:1], v10, v11, vcc
	v_subrev_co_u32_e64 v11, s[0:1], s20, v7
	v_subbrev_co_u32_e64 v10, s[0:1], 0, v10, s[0:1]
	v_cmp_le_u32_e64 s[0:1], s21, v10
	v_cndmask_b32_e64 v12, 0, -1, s[0:1]
	v_cmp_le_u32_e64 s[0:1], s20, v11
	v_cndmask_b32_e64 v11, 0, -1, s[0:1]
	v_cmp_eq_u32_e64 s[0:1], s21, v10
	v_cndmask_b32_e64 v10, v12, v11, s[0:1]
	v_add_co_u32_e64 v11, s[0:1], 2, v4
	v_addc_co_u32_e64 v12, s[0:1], 0, v9, s[0:1]
	v_add_co_u32_e64 v13, s[0:1], 1, v4
	v_addc_co_u32_e64 v14, s[0:1], 0, v9, s[0:1]
	v_subb_co_u32_e32 v8, vcc, v6, v8, vcc
	v_cmp_ne_u32_e64 s[0:1], 0, v10
	v_cmp_le_u32_e32 vcc, s21, v8
	v_cndmask_b32_e64 v10, v14, v12, s[0:1]
	v_cndmask_b32_e64 v12, 0, -1, vcc
	v_cmp_le_u32_e32 vcc, s20, v7
	v_cndmask_b32_e64 v7, 0, -1, vcc
	v_cmp_eq_u32_e32 vcc, s21, v8
	v_cndmask_b32_e32 v7, v12, v7, vcc
	v_cmp_ne_u32_e32 vcc, 0, v7
	v_cndmask_b32_e64 v7, v13, v11, s[0:1]
	v_cndmask_b32_e32 v8, v9, v10, vcc
	v_cndmask_b32_e32 v7, v4, v7, vcc
.LBB0_4:                                ;   in Loop: Header=BB0_2 Depth=1
	s_andn2_saveexec_b64 s[0:1], s[22:23]
	s_cbranch_execz .LBB0_6
; %bb.5:                                ;   in Loop: Header=BB0_2 Depth=1
	v_cvt_f32_u32_e32 v4, s20
	s_sub_i32 s22, 0, s20
	v_rcp_iflag_f32_e32 v4, v4
	v_mul_f32_e32 v4, 0x4f7ffffe, v4
	v_cvt_u32_f32_e32 v4, v4
	v_mul_lo_u32 v7, s22, v4
	v_mul_hi_u32 v7, v4, v7
	v_add_u32_e32 v4, v4, v7
	v_mul_hi_u32 v4, v5, v4
	v_mul_lo_u32 v7, v4, s20
	v_add_u32_e32 v8, 1, v4
	v_sub_u32_e32 v7, v5, v7
	v_subrev_u32_e32 v9, s20, v7
	v_cmp_le_u32_e32 vcc, s20, v7
	v_cndmask_b32_e32 v7, v7, v9, vcc
	v_cndmask_b32_e32 v4, v4, v8, vcc
	v_add_u32_e32 v8, 1, v4
	v_cmp_le_u32_e32 vcc, s20, v7
	v_cndmask_b32_e32 v7, v4, v8, vcc
	v_mov_b32_e32 v8, v3
.LBB0_6:                                ;   in Loop: Header=BB0_2 Depth=1
	s_or_b64 exec, exec, s[0:1]
	v_mul_lo_u32 v4, v8, s20
	v_mul_lo_u32 v11, v7, s21
	v_mad_u64_u32 v[9:10], s[0:1], v7, s20, 0
	s_load_dwordx2 s[0:1], s[6:7], 0x0
	s_add_u32 s18, s18, 1
	v_add3_u32 v4, v10, v11, v4
	v_sub_co_u32_e32 v5, vcc, v5, v9
	v_subb_co_u32_e32 v4, vcc, v6, v4, vcc
	s_waitcnt lgkmcnt(0)
	v_mul_lo_u32 v4, s0, v4
	v_mul_lo_u32 v6, s1, v5
	v_mad_u64_u32 v[1:2], s[0:1], s0, v5, v[1:2]
	s_addc_u32 s19, s19, 0
	s_add_u32 s6, s6, 8
	v_add3_u32 v2, v6, v2, v4
	v_mov_b32_e32 v4, s10
	v_mov_b32_e32 v5, s11
	s_addc_u32 s7, s7, 0
	v_cmp_ge_u64_e32 vcc, s[18:19], v[4:5]
	s_add_u32 s16, s16, 8
	s_addc_u32 s17, s17, 0
	s_cbranch_vccnz .LBB0_9
; %bb.7:                                ;   in Loop: Header=BB0_2 Depth=1
	v_mov_b32_e32 v5, v7
	v_mov_b32_e32 v6, v8
	s_branch .LBB0_2
.LBB0_8:
	v_mov_b32_e32 v8, v6
	v_mov_b32_e32 v7, v5
.LBB0_9:
	s_lshl_b64 s[0:1], s[10:11], 3
	s_add_u32 s0, s14, s0
	s_addc_u32 s1, s15, s1
	s_load_dwordx2 s[6:7], s[0:1], 0x0
	s_load_dwordx2 s[10:11], s[4:5], 0x20
	v_mov_b32_e32 v22, 0
                                        ; implicit-def: $vgpr11
                                        ; implicit-def: $vgpr21
                                        ; implicit-def: $vgpr19
                                        ; implicit-def: $vgpr17
                                        ; implicit-def: $vgpr15
                                        ; implicit-def: $vgpr13
                                        ; implicit-def: $vgpr9
	s_waitcnt lgkmcnt(0)
	v_mad_u64_u32 v[1:2], s[0:1], s6, v7, v[1:2]
	s_mov_b32 s0, 0x10b7e6f
	v_mul_lo_u32 v3, s6, v8
	v_mul_lo_u32 v4, s7, v7
	v_mul_hi_u32 v5, v0, s0
	v_cmp_gt_u64_e32 vcc, s[10:11], v[7:8]
                                        ; implicit-def: $vgpr7
	v_add3_u32 v2, v4, v2, v3
	v_mul_u32_u24_e32 v3, 0xf5, v5
	v_sub_u32_e32 v23, v0, v3
	v_lshlrev_b64 v[0:1], 3, v[1:2]
                                        ; implicit-def: $vgpr3
                                        ; implicit-def: $vgpr5
	s_and_saveexec_b64 s[4:5], vcc
	s_cbranch_execz .LBB0_13
; %bb.10:
	v_mad_u64_u32 v[2:3], s[0:1], s2, v23, 0
	v_add_u32_e32 v7, 0x157, v23
	v_mov_b32_e32 v6, s13
	v_mad_u64_u32 v[3:4], s[0:1], s3, v23, v[3:4]
	v_mad_u64_u32 v[4:5], s[0:1], s2, v7, 0
	v_add_co_u32_e64 v21, s[0:1], s12, v0
	v_addc_co_u32_e64 v22, s[0:1], v6, v1, s[0:1]
	v_mad_u64_u32 v[5:6], s[0:1], s3, v7, v[5:6]
	v_add_u32_e32 v8, 0x2ae, v23
	v_mad_u64_u32 v[6:7], s[0:1], s2, v8, 0
	v_lshlrev_b64 v[2:3], 3, v[2:3]
                                        ; implicit-def: $vgpr20
	v_add_co_u32_e64 v10, s[0:1], v21, v2
	v_addc_co_u32_e64 v11, s[0:1], v22, v3, s[0:1]
	v_lshlrev_b64 v[2:3], 3, v[4:5]
	v_mov_b32_e32 v4, v7
	v_mad_u64_u32 v[4:5], s[0:1], s3, v8, v[4:5]
	v_add_u32_e32 v5, 0x405, v23
	v_mad_u64_u32 v[8:9], s[0:1], s2, v5, 0
	v_add_co_u32_e64 v12, s[0:1], v21, v2
	v_mov_b32_e32 v7, v4
	v_mov_b32_e32 v4, v9
	v_addc_co_u32_e64 v13, s[0:1], v22, v3, s[0:1]
	v_mad_u64_u32 v[4:5], s[0:1], s3, v5, v[4:5]
	v_lshlrev_b64 v[2:3], 3, v[6:7]
	v_add_co_u32_e64 v14, s[0:1], v21, v2
	v_mov_b32_e32 v9, v4
	v_add_u32_e32 v4, 0x55c, v23
	v_addc_co_u32_e64 v15, s[0:1], v22, v3, s[0:1]
	v_mad_u64_u32 v[16:17], s[0:1], s2, v4, 0
	v_lshlrev_b64 v[2:3], 3, v[8:9]
	v_add_co_u32_e64 v18, s[0:1], v21, v2
	v_mov_b32_e32 v2, v17
	v_addc_co_u32_e64 v19, s[0:1], v22, v3, s[0:1]
	v_mad_u64_u32 v[24:25], s[0:1], s3, v4, v[2:3]
	global_load_dwordx2 v[2:3], v[10:11], off
	global_load_dwordx2 v[4:5], v[12:13], off
	;; [unrolled: 1-line block ×4, first 2 shown]
                                        ; implicit-def: $vgpr12
                                        ; implicit-def: $vgpr14
                                        ; implicit-def: $vgpr18
	v_mov_b32_e32 v17, v24
	v_lshlrev_b64 v[10:11], 3, v[16:17]
                                        ; implicit-def: $vgpr16
	v_add_co_u32_e64 v10, s[0:1], v21, v10
	v_addc_co_u32_e64 v11, s[0:1], v22, v11, s[0:1]
	global_load_dwordx2 v[10:11], v[10:11], off
	s_movk_i32 s0, 0x62
	v_cmp_gt_u32_e64 s[0:1], s0, v23
	s_and_saveexec_b64 s[6:7], s[0:1]
	s_cbranch_execz .LBB0_12
; %bb.11:
	v_add_u32_e32 v16, 0xf5, v23
	v_add_u32_e32 v18, 0x24c, v23
	v_mad_u64_u32 v[12:13], s[0:1], s2, v16, 0
	v_mad_u64_u32 v[14:15], s[0:1], s2, v18, 0
	;; [unrolled: 1-line block ×3, first 2 shown]
	v_mov_b32_e32 v13, v16
	v_mad_u64_u32 v[15:16], s[0:1], s3, v18, v[15:16]
	v_add_u32_e32 v18, 0x3a3, v23
	v_mad_u64_u32 v[16:17], s[0:1], s2, v18, 0
	v_lshlrev_b64 v[12:13], 3, v[12:13]
	v_add_co_u32_e64 v24, s[0:1], v21, v12
	v_addc_co_u32_e64 v25, s[0:1], v22, v13, s[0:1]
	v_lshlrev_b64 v[12:13], 3, v[14:15]
	v_mov_b32_e32 v14, v17
	v_mad_u64_u32 v[14:15], s[0:1], s3, v18, v[14:15]
	v_add_u32_e32 v15, 0x4fa, v23
	v_mad_u64_u32 v[18:19], s[0:1], s2, v15, 0
	v_add_co_u32_e64 v26, s[0:1], v21, v12
	v_mov_b32_e32 v17, v14
	v_mov_b32_e32 v14, v19
	v_addc_co_u32_e64 v27, s[0:1], v22, v13, s[0:1]
	v_mad_u64_u32 v[14:15], s[0:1], s3, v15, v[14:15]
	v_lshlrev_b64 v[12:13], 3, v[16:17]
	v_add_co_u32_e64 v28, s[0:1], v21, v12
	v_mov_b32_e32 v19, v14
	v_add_u32_e32 v14, 0x651, v23
	v_addc_co_u32_e64 v29, s[0:1], v22, v13, s[0:1]
	v_mad_u64_u32 v[30:31], s[0:1], s2, v14, 0
	v_lshlrev_b64 v[12:13], 3, v[18:19]
	v_add_co_u32_e64 v32, s[0:1], v21, v12
	v_mov_b32_e32 v12, v31
	v_addc_co_u32_e64 v33, s[0:1], v22, v13, s[0:1]
	v_mad_u64_u32 v[34:35], s[0:1], s3, v14, v[12:13]
	global_load_dwordx2 v[12:13], v[24:25], off
	global_load_dwordx2 v[14:15], v[26:27], off
	;; [unrolled: 1-line block ×4, first 2 shown]
	v_mov_b32_e32 v31, v34
	v_lshlrev_b64 v[24:25], 3, v[30:31]
	v_add_co_u32_e64 v20, s[0:1], v21, v24
	v_addc_co_u32_e64 v21, s[0:1], v22, v25, s[0:1]
	global_load_dwordx2 v[20:21], v[20:21], off
.LBB0_12:
	s_or_b64 exec, exec, s[6:7]
	v_mov_b32_e32 v22, v23
.LBB0_13:
	s_or_b64 exec, exec, s[4:5]
	s_waitcnt vmcnt(3)
	v_add_f32_e32 v24, v2, v4
	s_waitcnt vmcnt(2)
	v_add_f32_e32 v24, v24, v6
	;; [unrolled: 2-line block ×4, first 2 shown]
	v_add_f32_e32 v24, v8, v6
	v_fma_f32 v26, -0.5, v24, v2
	v_sub_f32_e32 v24, v5, v11
	v_mov_b32_e32 v27, v26
	v_fmac_f32_e32 v27, 0x3f737871, v24
	v_sub_f32_e32 v28, v7, v9
	v_sub_f32_e32 v29, v4, v6
	;; [unrolled: 1-line block ×3, first 2 shown]
	v_fmac_f32_e32 v26, 0xbf737871, v24
	v_fmac_f32_e32 v27, 0x3f167918, v28
	v_add_f32_e32 v29, v29, v30
	v_fmac_f32_e32 v26, 0xbf167918, v28
	v_fmac_f32_e32 v27, 0x3e9e377a, v29
	;; [unrolled: 1-line block ×3, first 2 shown]
	v_add_f32_e32 v29, v4, v10
	v_fmac_f32_e32 v2, -0.5, v29
	v_mov_b32_e32 v29, v2
	v_fmac_f32_e32 v29, 0xbf737871, v28
	v_sub_f32_e32 v30, v6, v4
	v_sub_f32_e32 v31, v8, v10
	v_fmac_f32_e32 v2, 0x3f737871, v28
	s_movk_i32 s0, 0x62
	v_fmac_f32_e32 v29, 0x3f167918, v24
	v_add_f32_e32 v30, v30, v31
	v_fmac_f32_e32 v2, 0xbf167918, v24
	v_mad_u32_u24 v24, v23, 20, 0
	v_cmp_gt_u32_e64 s[0:1], s0, v23
	v_fmac_f32_e32 v29, 0x3e9e377a, v30
	v_fmac_f32_e32 v2, 0x3e9e377a, v30
	ds_write2_b32 v24, v25, v27 offset1:1
	ds_write2_b32 v24, v29, v2 offset0:2 offset1:3
	ds_write_b32 v24, v26 offset:16
	s_and_saveexec_b64 s[4:5], s[0:1]
	s_cbranch_execz .LBB0_15
; %bb.14:
	v_sub_f32_e32 v2, v16, v14
	v_sub_f32_e32 v25, v18, v20
	v_add_f32_e32 v2, v25, v2
	v_add_f32_e32 v25, v20, v14
	v_fma_f32 v25, -0.5, v25, v12
	v_sub_f32_e32 v26, v17, v19
	v_mov_b32_e32 v27, v25
	v_fmac_f32_e32 v27, 0x3f737871, v26
	v_sub_f32_e32 v28, v15, v21
	v_fmac_f32_e32 v25, 0xbf737871, v26
	v_fmac_f32_e32 v27, 0xbf167918, v28
	;; [unrolled: 1-line block ×5, first 2 shown]
	v_sub_f32_e32 v2, v14, v16
	v_sub_f32_e32 v29, v20, v18
	v_add_f32_e32 v2, v29, v2
	v_add_f32_e32 v29, v18, v16
	v_fma_f32 v29, -0.5, v29, v12
	v_mov_b32_e32 v30, v29
	v_fmac_f32_e32 v30, 0xbf737871, v28
	v_fmac_f32_e32 v29, 0x3f737871, v28
	;; [unrolled: 1-line block ×6, first 2 shown]
	v_add_f32_e32 v2, v14, v12
	v_add_f32_e32 v2, v16, v2
	;; [unrolled: 1-line block ×4, first 2 shown]
	v_add_u32_e32 v12, 0x1324, v24
	ds_write2_b32 v12, v2, v29 offset1:1
	v_add_u32_e32 v2, 0x132c, v24
	ds_write2_b32 v2, v25, v27 offset1:1
	ds_write_b32 v24, v30 offset:4916
.LBB0_15:
	s_or_b64 exec, exec, s[4:5]
	v_add_f32_e32 v2, v3, v5
	v_add_f32_e32 v2, v2, v7
	;; [unrolled: 1-line block ×5, first 2 shown]
	v_fma_f32 v25, -0.5, v2, v3
	v_sub_f32_e32 v2, v4, v10
	v_mov_b32_e32 v26, v25
	v_fmac_f32_e32 v26, 0xbf737871, v2
	v_sub_f32_e32 v4, v6, v8
	v_sub_f32_e32 v6, v5, v7
	;; [unrolled: 1-line block ×3, first 2 shown]
	v_fmac_f32_e32 v25, 0x3f737871, v2
	v_fmac_f32_e32 v26, 0xbf167918, v4
	v_add_f32_e32 v6, v6, v8
	v_fmac_f32_e32 v25, 0x3f167918, v4
	v_fmac_f32_e32 v26, 0x3e9e377a, v6
	;; [unrolled: 1-line block ×3, first 2 shown]
	v_add_f32_e32 v6, v5, v11
	v_fmac_f32_e32 v3, -0.5, v6
	v_mov_b32_e32 v27, v3
	v_fmac_f32_e32 v27, 0x3f737871, v4
	v_fmac_f32_e32 v3, 0xbf737871, v4
	;; [unrolled: 1-line block ×4, first 2 shown]
	v_lshlrev_b32_e32 v2, 4, v23
	v_sub_f32_e32 v5, v7, v5
	v_sub_f32_e32 v6, v9, v11
	v_sub_u32_e32 v10, 0, v2
	v_sub_u32_e32 v2, v24, v2
	v_add_f32_e32 v5, v5, v6
	v_add_u32_e32 v6, 0x780, v2
	s_waitcnt lgkmcnt(0)
	s_barrier
	ds_read2_b32 v[8:9], v6 offset0:10 offset1:255
	v_add_u32_e32 v6, 0xf40, v2
	v_fmac_f32_e32 v27, 0x3e9e377a, v5
	v_fmac_f32_e32 v3, 0x3e9e377a, v5
	ds_read2_b32 v[4:5], v2 offset1:245
	ds_read2_b32 v[6:7], v6 offset0:4 offset1:249
	ds_read_b32 v2, v2 offset:5880
	s_waitcnt lgkmcnt(0)
	s_barrier
	ds_write2_b32 v24, v12, v26 offset1:1
	ds_write2_b32 v24, v27, v3 offset0:2 offset1:3
	ds_write_b32 v24, v25 offset:16
	s_and_saveexec_b64 s[4:5], s[0:1]
	s_cbranch_execz .LBB0_17
; %bb.16:
	v_add_f32_e32 v11, v19, v17
	v_fma_f32 v11, -0.5, v11, v13
	v_sub_f32_e32 v12, v14, v20
	v_mov_b32_e32 v14, v11
	v_fmac_f32_e32 v14, 0xbf737871, v12
	v_sub_f32_e32 v16, v16, v18
	v_sub_f32_e32 v18, v15, v17
	;; [unrolled: 1-line block ×3, first 2 shown]
	v_fmac_f32_e32 v11, 0x3f737871, v12
	v_fmac_f32_e32 v14, 0xbf167918, v16
	v_add_f32_e32 v18, v20, v18
	v_fmac_f32_e32 v11, 0x3f167918, v16
	v_fmac_f32_e32 v14, 0x3e9e377a, v18
	;; [unrolled: 1-line block ×3, first 2 shown]
	v_add_f32_e32 v18, v21, v15
	v_add_f32_e32 v3, v15, v13
	v_fmac_f32_e32 v13, -0.5, v18
	v_add_f32_e32 v3, v17, v3
	v_mov_b32_e32 v18, v13
	v_add_f32_e32 v3, v19, v3
	v_fmac_f32_e32 v18, 0x3f737871, v16
	v_sub_f32_e32 v15, v17, v15
	v_sub_f32_e32 v17, v19, v21
	v_fmac_f32_e32 v13, 0xbf737871, v16
	v_add_f32_e32 v3, v21, v3
	v_fmac_f32_e32 v18, 0xbf167918, v12
	v_add_f32_e32 v15, v17, v15
	v_fmac_f32_e32 v13, 0x3f167918, v12
	v_add_u32_e32 v12, 0x1324, v24
	v_fmac_f32_e32 v18, 0x3e9e377a, v15
	v_fmac_f32_e32 v13, 0x3e9e377a, v15
	ds_write2_b32 v12, v3, v14 offset1:1
	v_add_u32_e32 v3, 0x132c, v24
	ds_write2_b32 v3, v18, v13 offset1:1
	ds_write_b32 v24, v11 offset:4916
.LBB0_17:
	s_or_b64 exec, exec, s[4:5]
	s_movk_i32 s0, 0xcd
	v_mul_lo_u16_sdwa v3, v23, s0 dst_sel:DWORD dst_unused:UNUSED_PAD src0_sel:BYTE_0 src1_sel:DWORD
	v_lshrrev_b16_e32 v3, 10, v3
	v_mul_lo_u16_e32 v11, 5, v3
	v_sub_u16_e32 v21, v23, v11
	v_mov_b32_e32 v26, 6
	v_mul_u32_u24_sdwa v11, v21, v26 dst_sel:DWORD dst_unused:UNUSED_PAD src0_sel:BYTE_0 src1_sel:DWORD
	v_lshlrev_b32_e32 v27, 3, v11
	s_waitcnt lgkmcnt(0)
	s_barrier
	global_load_dwordx4 v[11:14], v27, s[8:9]
	global_load_dwordx4 v[15:18], v27, s[8:9] offset:16
	v_add_u32_e32 v10, v24, v10
	v_add_u32_e32 v28, 0x780, v10
	ds_read2_b32 v[19:20], v10 offset1:245
	ds_read2_b32 v[24:25], v28 offset0:10 offset1:255
	s_mov_b32 s0, 0x3f5ff5aa
	s_mov_b32 s4, 0xbf3bfb3b
	;; [unrolled: 1-line block ×4, first 2 shown]
	v_mul_u32_u24_e32 v3, 0x8c, v3
	s_movk_i32 s6, 0xeb
	s_waitcnt vmcnt(1) lgkmcnt(1)
	v_mul_f32_e32 v29, v20, v12
	v_mul_f32_e32 v30, v5, v12
	s_waitcnt lgkmcnt(0)
	v_mul_f32_e32 v12, v24, v14
	v_mul_f32_e32 v31, v8, v14
	v_fma_f32 v5, v5, v11, -v29
	v_fmac_f32_e32 v30, v20, v11
	v_fma_f32 v20, v8, v13, -v12
	v_fmac_f32_e32 v31, v24, v13
	global_load_dwordx4 v[11:14], v27, s[8:9] offset:32
	v_add_u32_e32 v24, 0xf40, v10
	s_waitcnt vmcnt(1)
	v_mul_f32_e32 v8, v25, v16
	v_mul_f32_e32 v16, v9, v16
	v_fma_f32 v27, v9, v15, -v8
	ds_read2_b32 v[8:9], v24 offset0:4 offset1:249
	v_fmac_f32_e32 v16, v25, v15
	s_waitcnt lgkmcnt(0)
	v_mul_f32_e32 v15, v8, v18
	v_mul_f32_e32 v18, v6, v18
	v_fmac_f32_e32 v18, v8, v17
	ds_read_b32 v8, v10 offset:5880
	v_fma_f32 v6, v6, v17, -v15
	s_waitcnt vmcnt(0) lgkmcnt(0)
	s_barrier
	v_mul_f32_e32 v15, v9, v12
	v_mul_f32_e32 v12, v7, v12
	v_mul_f32_e32 v17, v8, v14
	v_mul_f32_e32 v14, v2, v14
	v_fma_f32 v7, v7, v11, -v15
	v_fmac_f32_e32 v12, v9, v11
	v_fma_f32 v2, v2, v13, -v17
	v_fmac_f32_e32 v14, v8, v13
	v_add_f32_e32 v8, v5, v2
	v_add_f32_e32 v9, v30, v14
	;; [unrolled: 1-line block ×4, first 2 shown]
	v_sub_f32_e32 v2, v5, v2
	v_sub_f32_e32 v5, v30, v14
	v_add_f32_e32 v14, v27, v6
	v_add_f32_e32 v15, v16, v18
	v_sub_f32_e32 v16, v18, v16
	v_add_f32_e32 v17, v11, v8
	v_add_f32_e32 v18, v13, v9
	v_sub_f32_e32 v7, v20, v7
	v_sub_f32_e32 v6, v6, v27
	;; [unrolled: 1-line block ×8, first 2 shown]
	v_add_f32_e32 v14, v14, v17
	v_add_f32_e32 v15, v15, v18
	v_sub_f32_e32 v12, v31, v12
	v_add_f32_e32 v27, v6, v7
	v_sub_f32_e32 v30, v6, v7
	v_add_f32_e32 v4, v4, v14
	v_add_f32_e32 v19, v19, v15
	;; [unrolled: 1-line block ×3, first 2 shown]
	v_sub_f32_e32 v31, v16, v12
	v_sub_f32_e32 v6, v2, v6
	;; [unrolled: 1-line block ×4, first 2 shown]
	v_add_f32_e32 v2, v27, v2
	v_mul_f32_e32 v8, 0x3f4a47b2, v8
	v_mul_f32_e32 v9, 0x3f4a47b2, v9
	;; [unrolled: 1-line block ×3, first 2 shown]
	v_mov_b32_e32 v32, v4
	v_mov_b32_e32 v33, v19
	v_sub_f32_e32 v16, v5, v16
	v_add_f32_e32 v5, v29, v5
	v_mul_f32_e32 v17, 0x3d64c772, v11
	v_mul_f32_e32 v29, 0xbf08b237, v31
	;; [unrolled: 1-line block ×4, first 2 shown]
	v_fmac_f32_e32 v32, 0xbf955555, v14
	v_fmac_f32_e32 v33, 0xbf955555, v15
	v_fma_f32 v14, v20, s4, -v8
	v_fmac_f32_e32 v8, 0x3d64c772, v11
	v_fma_f32 v11, v25, s4, -v9
	;; [unrolled: 2-line block ×3, first 2 shown]
	v_fmac_f32_e32 v27, 0x3eae86e6, v6
	v_mul_f32_e32 v18, 0x3d64c772, v13
	v_fma_f32 v12, v12, s0, -v29
	v_fmac_f32_e32 v29, 0x3eae86e6, v16
	v_fma_f32 v6, v6, s5, -v30
	v_fma_f32 v13, v16, s5, -v31
	v_add_f32_e32 v9, v9, v33
	v_fmac_f32_e32 v27, 0x3ee1c552, v2
	v_fma_f32 v18, v25, s1, -v18
	v_add_f32_e32 v11, v11, v33
	v_fmac_f32_e32 v29, 0x3ee1c552, v5
	v_fmac_f32_e32 v12, 0x3ee1c552, v5
	;; [unrolled: 1-line block ×4, first 2 shown]
	v_sub_f32_e32 v5, v9, v27
	v_add_f32_e32 v9, v27, v9
	v_mov_b32_e32 v27, 2
	v_fma_f32 v17, v20, s1, -v17
	v_add_f32_e32 v8, v8, v32
	v_add_f32_e32 v16, v18, v33
	v_sub_f32_e32 v18, v11, v6
	v_add_f32_e32 v6, v6, v11
	v_lshlrev_b32_sdwa v11, v27, v21 dst_sel:DWORD dst_unused:UNUSED_PAD src0_sel:DWORD src1_sel:BYTE_0
	v_add_f32_e32 v15, v17, v32
	v_add_f32_e32 v14, v14, v32
	v_fmac_f32_e32 v7, 0x3ee1c552, v2
	v_add_f32_e32 v2, v29, v8
	v_add3_u32 v3, 0, v3, v11
	v_add_f32_e32 v17, v13, v14
	v_sub_f32_e32 v20, v15, v12
	v_add_f32_e32 v25, v7, v16
	v_add_f32_e32 v12, v12, v15
	v_sub_f32_e32 v13, v14, v13
	v_sub_f32_e32 v8, v8, v29
	ds_write2_b32 v3, v4, v2 offset1:5
	ds_write2_b32 v3, v17, v20 offset0:10 offset1:15
	ds_write2_b32 v3, v12, v13 offset0:20 offset1:25
	ds_write_b32 v3, v8 offset:120
	v_mul_lo_u16_sdwa v2, v23, s6 dst_sel:DWORD dst_unused:UNUSED_PAD src0_sel:BYTE_0 src1_sel:DWORD
	v_sub_f32_e32 v7, v16, v7
	s_waitcnt lgkmcnt(0)
	s_barrier
	ds_read2_b32 v[11:12], v10 offset1:245
	ds_read2_b32 v[13:14], v28 offset0:10 offset1:255
	ds_read2_b32 v[15:16], v24 offset0:4 offset1:249
	ds_read_b32 v21, v10 offset:5880
	s_waitcnt lgkmcnt(0)
	s_barrier
	ds_write2_b32 v3, v19, v5 offset1:5
	ds_write2_b32 v3, v18, v25 offset0:10 offset1:15
	ds_write2_b32 v3, v7, v6 offset0:20 offset1:25
	ds_write_b32 v3, v9 offset:120
	v_lshrrev_b16_e32 v25, 13, v2
	v_mul_lo_u16_e32 v2, 35, v25
	v_sub_u16_e32 v29, v23, v2
	v_mul_u32_u24_sdwa v2, v29, v26 dst_sel:DWORD dst_unused:UNUSED_PAD src0_sel:BYTE_0 src1_sel:DWORD
	v_lshlrev_b32_e32 v26, 3, v2
	s_waitcnt lgkmcnt(0)
	s_barrier
	global_load_dwordx4 v[2:5], v26, s[8:9] offset:240
	global_load_dwordx4 v[6:9], v26, s[8:9] offset:256
	ds_read2_b32 v[17:18], v10 offset1:245
	ds_read2_b32 v[19:20], v28 offset0:10 offset1:255
	s_waitcnt vmcnt(1) lgkmcnt(1)
	v_mul_f32_e32 v30, v18, v3
	v_mul_f32_e32 v31, v12, v3
	s_waitcnt lgkmcnt(0)
	v_mul_f32_e32 v3, v19, v5
	v_mul_f32_e32 v32, v13, v5
	v_fma_f32 v30, v12, v2, -v30
	v_fmac_f32_e32 v31, v18, v2
	v_fma_f32 v18, v13, v4, -v3
	v_fmac_f32_e32 v32, v19, v4
	global_load_dwordx4 v[2:5], v26, s[8:9] offset:272
	s_waitcnt vmcnt(1)
	v_mul_f32_e32 v12, v20, v7
	v_fma_f32 v19, v14, v6, -v12
	ds_read2_b32 v[12:13], v24 offset0:4 offset1:249
	v_mul_f32_e32 v7, v14, v7
	v_fmac_f32_e32 v7, v20, v6
	s_waitcnt lgkmcnt(0)
	v_mul_f32_e32 v6, v12, v9
	v_mul_f32_e32 v9, v15, v9
	v_fma_f32 v6, v15, v8, -v6
	v_fmac_f32_e32 v9, v12, v8
	ds_read_b32 v8, v10 offset:5880
	v_add_f32_e32 v15, v19, v6
	v_sub_f32_e32 v6, v6, v19
	s_waitcnt vmcnt(0) lgkmcnt(0)
	s_barrier
	v_mul_f32_e32 v12, v13, v3
	v_mul_f32_e32 v3, v16, v3
	v_fma_f32 v12, v16, v2, -v12
	v_fmac_f32_e32 v3, v13, v2
	v_mul_f32_e32 v2, v8, v5
	v_fma_f32 v2, v21, v4, -v2
	v_mul_f32_e32 v5, v21, v5
	v_fmac_f32_e32 v5, v8, v4
	v_add_f32_e32 v4, v30, v2
	v_add_f32_e32 v13, v18, v12
	;; [unrolled: 1-line block ×5, first 2 shown]
	v_sub_f32_e32 v7, v9, v7
	v_add_f32_e32 v9, v13, v4
	v_sub_f32_e32 v12, v18, v12
	v_add_f32_e32 v18, v14, v8
	v_add_f32_e32 v9, v15, v9
	v_sub_f32_e32 v2, v30, v2
	v_sub_f32_e32 v3, v32, v3
	;; [unrolled: 1-line block ×5, first 2 shown]
	v_add_f32_e32 v15, v16, v18
	v_add_f32_e32 v11, v11, v9
	v_sub_f32_e32 v5, v31, v5
	v_sub_f32_e32 v20, v14, v8
	;; [unrolled: 1-line block ×4, first 2 shown]
	v_add_f32_e32 v21, v6, v12
	v_add_f32_e32 v26, v7, v3
	v_sub_f32_e32 v30, v6, v12
	v_sub_f32_e32 v31, v7, v3
	;; [unrolled: 1-line block ×3, first 2 shown]
	v_add_f32_e32 v16, v17, v15
	v_mov_b32_e32 v32, v11
	v_sub_f32_e32 v6, v2, v6
	v_sub_f32_e32 v7, v5, v7
	;; [unrolled: 1-line block ×3, first 2 shown]
	v_add_f32_e32 v2, v21, v2
	v_add_f32_e32 v5, v26, v5
	v_mul_f32_e32 v4, 0x3f4a47b2, v4
	v_mul_f32_e32 v8, 0x3f4a47b2, v8
	;; [unrolled: 1-line block ×7, first 2 shown]
	v_fmac_f32_e32 v32, 0xbf955555, v9
	v_mov_b32_e32 v9, v16
	v_mul_f32_e32 v31, 0x3f5ff5aa, v3
	v_fmac_f32_e32 v9, 0xbf955555, v15
	v_fma_f32 v15, v19, s1, -v17
	v_fma_f32 v17, v20, s1, -v18
	;; [unrolled: 1-line block ×3, first 2 shown]
	v_fmac_f32_e32 v4, 0x3d64c772, v13
	v_fma_f32 v13, v20, s4, -v8
	v_fmac_f32_e32 v8, 0x3d64c772, v14
	v_fma_f32 v12, v12, s0, -v21
	;; [unrolled: 2-line block ×3, first 2 shown]
	v_fma_f32 v6, v6, s5, -v30
	v_fmac_f32_e32 v26, 0x3eae86e6, v7
	v_fma_f32 v7, v7, s5, -v31
	v_add_f32_e32 v8, v8, v9
	v_add_f32_e32 v14, v15, v32
	;; [unrolled: 1-line block ×4, first 2 shown]
	v_fmac_f32_e32 v21, 0x3ee1c552, v2
	v_fmac_f32_e32 v3, 0x3ee1c552, v5
	;; [unrolled: 1-line block ×3, first 2 shown]
	v_add_f32_e32 v4, v4, v32
	v_add_f32_e32 v17, v18, v32
	v_fmac_f32_e32 v26, 0x3ee1c552, v5
	v_fmac_f32_e32 v12, 0x3ee1c552, v2
	;; [unrolled: 1-line block ×3, first 2 shown]
	v_sub_f32_e32 v13, v8, v21
	v_sub_f32_e32 v18, v9, v6
	v_sub_f32_e32 v19, v14, v3
	v_add_f32_e32 v3, v3, v14
	v_add_f32_e32 v9, v6, v9
	;; [unrolled: 1-line block ×3, first 2 shown]
	v_mul_u32_u24_e32 v6, 0x3d4, v25
	v_lshlrev_b32_sdwa v8, v27, v29 dst_sel:DWORD dst_unused:UNUSED_PAD src0_sel:DWORD src1_sel:BYTE_0
	v_add_f32_e32 v2, v26, v4
	v_add_f32_e32 v5, v7, v17
	;; [unrolled: 1-line block ×3, first 2 shown]
	v_sub_f32_e32 v12, v15, v12
	v_sub_f32_e32 v7, v17, v7
	;; [unrolled: 1-line block ×3, first 2 shown]
	v_add3_u32 v15, 0, v6, v8
	ds_write2_b32 v15, v11, v2 offset1:35
	ds_write2_b32 v15, v5, v19 offset0:70 offset1:105
	ds_write2_b32 v15, v3, v7 offset0:140 offset1:175
	ds_write_b32 v15, v4 offset:840
	s_waitcnt lgkmcnt(0)
	s_barrier
	ds_read2_b32 v[2:3], v10 offset1:245
	ds_read2_b32 v[4:5], v28 offset0:10 offset1:255
	ds_read2_b32 v[6:7], v24 offset0:4 offset1:249
	ds_read_b32 v8, v10 offset:5880
	s_waitcnt lgkmcnt(0)
	s_barrier
	ds_write2_b32 v15, v16, v13 offset1:35
	ds_write2_b32 v15, v18, v20 offset0:70 offset1:105
	ds_write2_b32 v15, v12, v9 offset0:140 offset1:175
	ds_write_b32 v15, v14 offset:840
	s_waitcnt lgkmcnt(0)
	s_barrier
	s_and_saveexec_b64 s[6:7], vcc
	s_cbranch_execz .LBB0_19
; %bb.18:
	v_mul_u32_u24_e32 v9, 6, v23
	v_lshlrev_b32_e32 v9, 3, v9
	global_load_dwordx4 v[11:14], v9, s[8:9] offset:1936
	global_load_dwordx4 v[15:18], v9, s[8:9] offset:1920
	global_load_dwordx4 v[23:26], v9, s[8:9] offset:1952
	v_add_u32_e32 v9, 0xf40, v10
	v_add_u32_e32 v21, 0x780, v10
	ds_read2_b32 v[19:20], v9 offset0:4 offset1:249
	ds_read2_b32 v[27:28], v21 offset0:10 offset1:255
	s_waitcnt vmcnt(2) lgkmcnt(1)
	v_mul_f32_e32 v9, v19, v14
	s_waitcnt lgkmcnt(0)
	v_mul_f32_e32 v21, v28, v12
	v_mul_f32_e32 v12, v5, v12
	;; [unrolled: 1-line block ×3, first 2 shown]
	v_fma_f32 v9, v6, v13, -v9
	v_fma_f32 v21, v5, v11, -v21
	ds_read2_b32 v[5:6], v10 offset1:245
	ds_read_b32 v10, v10 offset:5880
	v_fmac_f32_e32 v14, v13, v19
	s_waitcnt vmcnt(0)
	v_mul_f32_e32 v19, v20, v24
	v_fma_f32 v19, v7, v23, -v19
	v_mul_f32_e32 v7, v7, v24
	s_waitcnt lgkmcnt(0)
	v_mul_f32_e32 v13, v10, v26
	v_mul_f32_e32 v24, v27, v18
	v_fma_f32 v24, v4, v17, -v24
	v_mul_f32_e32 v4, v4, v18
	v_mul_f32_e32 v18, v8, v26
	v_fma_f32 v8, v8, v25, -v13
	v_mul_f32_e32 v13, v3, v16
	v_fmac_f32_e32 v12, v11, v28
	v_mul_f32_e32 v11, v6, v16
	v_fmac_f32_e32 v18, v25, v10
	v_fmac_f32_e32 v13, v15, v6
	;; [unrolled: 1-line block ×4, first 2 shown]
	v_fma_f32 v3, v3, v15, -v11
	v_sub_f32_e32 v10, v9, v21
	v_sub_f32_e32 v11, v24, v19
	v_add_f32_e32 v15, v13, v18
	v_add_f32_e32 v16, v14, v12
	;; [unrolled: 1-line block ×3, first 2 shown]
	v_sub_f32_e32 v6, v3, v8
	v_add_f32_e32 v8, v3, v8
	v_add_f32_e32 v3, v9, v21
	;; [unrolled: 1-line block ×3, first 2 shown]
	v_sub_f32_e32 v12, v14, v12
	v_sub_f32_e32 v14, v4, v7
	;; [unrolled: 1-line block ×4, first 2 shown]
	v_add_f32_e32 v20, v15, v17
	v_sub_f32_e32 v23, v3, v9
	v_add_f32_e32 v24, v8, v9
	v_mul_f32_e32 v27, 0xbf08b237, v7
	v_mul_f32_e32 v19, 0x3d64c772, v19
	v_add_f32_e32 v7, v16, v20
	v_sub_f32_e32 v13, v13, v18
	v_sub_f32_e32 v4, v6, v10
	v_add_f32_e32 v10, v10, v11
	v_sub_f32_e32 v18, v15, v16
	v_sub_f32_e32 v21, v8, v3
	v_mul_f32_e32 v20, 0x3d64c772, v23
	v_add_f32_e32 v23, v3, v24
	v_mov_b32_e32 v29, v19
	v_add_f32_e32 v3, v5, v7
	v_sub_f32_e32 v26, v12, v14
	v_sub_f32_e32 v11, v11, v6
	v_add_f32_e32 v10, v6, v10
	v_mul_f32_e32 v6, 0x3f4a47b2, v18
	v_mov_b32_e32 v5, v20
	v_add_f32_e32 v2, v2, v23
	v_fmac_f32_e32 v29, 0x3f4a47b2, v18
	v_mov_b32_e32 v18, v3
	v_sub_f32_e32 v15, v17, v15
	v_sub_f32_e32 v25, v13, v12
	v_add_f32_e32 v12, v12, v14
	v_mul_f32_e32 v16, 0x3f4a47b2, v21
	v_mul_f32_e32 v24, 0xbf08b237, v26
	;; [unrolled: 1-line block ×3, first 2 shown]
	v_mov_b32_e32 v28, v27
	v_fmac_f32_e32 v5, 0x3f4a47b2, v21
	v_mov_b32_e32 v21, v2
	v_fmac_f32_e32 v18, 0xbf955555, v7
	v_fma_f32 v6, v15, s4, -v6
	v_sub_f32_e32 v8, v9, v8
	v_add_f32_e32 v12, v13, v12
	v_fma_f32 v26, v4, s5, -v26
	v_fmac_f32_e32 v28, 0x3eae86e6, v4
	v_fmac_f32_e32 v21, 0xbf955555, v23
	v_add_f32_e32 v17, v6, v18
	v_fma_f32 v6, v8, s4, -v16
	v_sub_f32_e32 v13, v14, v13
	v_fma_f32 v9, v15, s1, -v19
	v_fma_f32 v16, v11, s0, -v27
	v_mov_b32_e32 v30, v24
	v_fmac_f32_e32 v28, 0x3ee1c552, v10
	v_add_f32_e32 v23, v29, v18
	v_fmac_f32_e32 v26, 0x3ee1c552, v10
	v_add_f32_e32 v31, v6, v21
	v_mul_f32_e32 v6, 0x3f5ff5aa, v13
	v_add_f32_e32 v15, v9, v18
	v_fmac_f32_e32 v16, 0x3ee1c552, v10
	v_fma_f32 v18, v13, s0, -v24
	v_fma_f32 v8, v8, s1, -v20
	v_mad_u64_u32 v[10:11], s[0:1], s2, v22, 0
	v_fmac_f32_e32 v30, 0x3eae86e6, v25
	v_fma_f32 v14, v25, s5, -v6
	v_fmac_f32_e32 v30, 0x3ee1c552, v12
	v_fmac_f32_e32 v14, 0x3ee1c552, v12
	v_fmac_f32_e32 v18, 0x3ee1c552, v12
	v_add_f32_e32 v12, v8, v21
	v_add_f32_e32 v8, v18, v12
	v_sub_f32_e32 v12, v12, v18
	v_add_f32_e32 v7, v26, v17
	v_sub_f32_e32 v9, v15, v16
	v_add_f32_e32 v13, v16, v15
	v_sub_f32_e32 v15, v17, v26
	v_mad_u64_u32 v[16:17], s[0:1], s3, v22, v[11:12]
	v_add_f32_e32 v29, v5, v21
	v_add_f32_e32 v5, v28, v23
	v_sub_f32_e32 v18, v23, v28
	v_mov_b32_e32 v11, v16
	v_mov_b32_e32 v16, s13
	v_add_co_u32_e32 v23, vcc, s12, v0
	v_addc_co_u32_e32 v24, vcc, v16, v1, vcc
	v_add_u32_e32 v16, 0xf5, v22
	v_lshlrev_b64 v[0:1], 3, v[10:11]
	v_mad_u64_u32 v[10:11], s[0:1], s2, v16, 0
	v_add_co_u32_e32 v0, vcc, v23, v0
	v_mad_u64_u32 v[19:20], s[0:1], s3, v16, v[11:12]
	v_add_u32_e32 v16, 0x1ea, v22
	v_mad_u64_u32 v[20:21], s[0:1], s2, v16, 0
	v_addc_co_u32_e32 v1, vcc, v24, v1, vcc
	global_store_dwordx2 v[0:1], v[2:3], off
	v_mov_b32_e32 v2, v21
	v_mad_u64_u32 v[2:3], s[0:1], s3, v16, v[2:3]
	v_mov_b32_e32 v11, v19
	v_lshlrev_b64 v[0:1], 3, v[10:11]
	v_add_u32_e32 v10, 0x2df, v22
	v_mov_b32_e32 v21, v2
	v_mad_u64_u32 v[2:3], s[0:1], s2, v10, 0
	v_sub_f32_e32 v4, v29, v30
	v_add_co_u32_e32 v0, vcc, v23, v0
	v_mad_u64_u32 v[10:11], s[0:1], s3, v10, v[3:4]
	v_add_f32_e32 v17, v30, v29
	v_addc_co_u32_e32 v1, vcc, v24, v1, vcc
	v_add_u32_e32 v11, 0x3d4, v22
	global_store_dwordx2 v[0:1], v[17:18], off
	v_lshlrev_b64 v[0:1], 3, v[20:21]
	v_mad_u64_u32 v[16:17], s[0:1], s2, v11, 0
	v_add_co_u32_e32 v0, vcc, v23, v0
	v_sub_f32_e32 v6, v31, v14
	v_add_f32_e32 v14, v14, v31
	v_addc_co_u32_e32 v1, vcc, v24, v1, vcc
	v_mov_b32_e32 v3, v10
	global_store_dwordx2 v[0:1], v[14:15], off
	v_lshlrev_b64 v[0:1], 3, v[2:3]
	v_mov_b32_e32 v2, v17
	v_mad_u64_u32 v[2:3], s[0:1], s3, v11, v[2:3]
	v_add_u32_e32 v10, 0x4c9, v22
	v_add_co_u32_e32 v0, vcc, v23, v0
	v_mov_b32_e32 v17, v2
	v_mad_u64_u32 v[2:3], s[0:1], s2, v10, 0
	v_addc_co_u32_e32 v1, vcc, v24, v1, vcc
	global_store_dwordx2 v[0:1], v[12:13], off
	v_mad_u64_u32 v[10:11], s[0:1], s3, v10, v[3:4]
	v_add_u32_e32 v13, 0x5be, v22
	v_lshlrev_b64 v[0:1], 3, v[16:17]
	v_mad_u64_u32 v[11:12], s[0:1], s2, v13, 0
	v_add_co_u32_e32 v0, vcc, v23, v0
	v_addc_co_u32_e32 v1, vcc, v24, v1, vcc
	v_mov_b32_e32 v3, v10
	global_store_dwordx2 v[0:1], v[8:9], off
	v_lshlrev_b64 v[0:1], 3, v[2:3]
	v_mov_b32_e32 v2, v12
	v_mad_u64_u32 v[2:3], s[0:1], s3, v13, v[2:3]
	v_add_co_u32_e32 v0, vcc, v23, v0
	v_addc_co_u32_e32 v1, vcc, v24, v1, vcc
	v_mov_b32_e32 v12, v2
	global_store_dwordx2 v[0:1], v[6:7], off
	v_lshlrev_b64 v[0:1], 3, v[11:12]
	v_add_co_u32_e32 v0, vcc, v23, v0
	v_addc_co_u32_e32 v1, vcc, v24, v1, vcc
	global_store_dwordx2 v[0:1], v[4:5], off
.LBB0_19:
	s_endpgm
	.section	.rodata,"a",@progbits
	.p2align	6, 0x0
	.amdhsa_kernel fft_rtc_fwd_len1715_factors_5_7_7_7_wgs_245_tpt_245_halfLds_sp_ip_CI_sbrr_dirReg
		.amdhsa_group_segment_fixed_size 0
		.amdhsa_private_segment_fixed_size 0
		.amdhsa_kernarg_size 88
		.amdhsa_user_sgpr_count 6
		.amdhsa_user_sgpr_private_segment_buffer 1
		.amdhsa_user_sgpr_dispatch_ptr 0
		.amdhsa_user_sgpr_queue_ptr 0
		.amdhsa_user_sgpr_kernarg_segment_ptr 1
		.amdhsa_user_sgpr_dispatch_id 0
		.amdhsa_user_sgpr_flat_scratch_init 0
		.amdhsa_user_sgpr_private_segment_size 0
		.amdhsa_uses_dynamic_stack 0
		.amdhsa_system_sgpr_private_segment_wavefront_offset 0
		.amdhsa_system_sgpr_workgroup_id_x 1
		.amdhsa_system_sgpr_workgroup_id_y 0
		.amdhsa_system_sgpr_workgroup_id_z 0
		.amdhsa_system_sgpr_workgroup_info 0
		.amdhsa_system_vgpr_workitem_id 0
		.amdhsa_next_free_vgpr 36
		.amdhsa_next_free_sgpr 24
		.amdhsa_reserve_vcc 1
		.amdhsa_reserve_flat_scratch 0
		.amdhsa_float_round_mode_32 0
		.amdhsa_float_round_mode_16_64 0
		.amdhsa_float_denorm_mode_32 3
		.amdhsa_float_denorm_mode_16_64 3
		.amdhsa_dx10_clamp 1
		.amdhsa_ieee_mode 1
		.amdhsa_fp16_overflow 0
		.amdhsa_exception_fp_ieee_invalid_op 0
		.amdhsa_exception_fp_denorm_src 0
		.amdhsa_exception_fp_ieee_div_zero 0
		.amdhsa_exception_fp_ieee_overflow 0
		.amdhsa_exception_fp_ieee_underflow 0
		.amdhsa_exception_fp_ieee_inexact 0
		.amdhsa_exception_int_div_zero 0
	.end_amdhsa_kernel
	.text
.Lfunc_end0:
	.size	fft_rtc_fwd_len1715_factors_5_7_7_7_wgs_245_tpt_245_halfLds_sp_ip_CI_sbrr_dirReg, .Lfunc_end0-fft_rtc_fwd_len1715_factors_5_7_7_7_wgs_245_tpt_245_halfLds_sp_ip_CI_sbrr_dirReg
                                        ; -- End function
	.section	.AMDGPU.csdata,"",@progbits
; Kernel info:
; codeLenInByte = 5520
; NumSgprs: 28
; NumVgprs: 36
; ScratchSize: 0
; MemoryBound: 0
; FloatMode: 240
; IeeeMode: 1
; LDSByteSize: 0 bytes/workgroup (compile time only)
; SGPRBlocks: 3
; VGPRBlocks: 8
; NumSGPRsForWavesPerEU: 28
; NumVGPRsForWavesPerEU: 36
; Occupancy: 7
; WaveLimiterHint : 1
; COMPUTE_PGM_RSRC2:SCRATCH_EN: 0
; COMPUTE_PGM_RSRC2:USER_SGPR: 6
; COMPUTE_PGM_RSRC2:TRAP_HANDLER: 0
; COMPUTE_PGM_RSRC2:TGID_X_EN: 1
; COMPUTE_PGM_RSRC2:TGID_Y_EN: 0
; COMPUTE_PGM_RSRC2:TGID_Z_EN: 0
; COMPUTE_PGM_RSRC2:TIDIG_COMP_CNT: 0
	.type	__hip_cuid_6bc7c21b91e00fd6,@object ; @__hip_cuid_6bc7c21b91e00fd6
	.section	.bss,"aw",@nobits
	.globl	__hip_cuid_6bc7c21b91e00fd6
__hip_cuid_6bc7c21b91e00fd6:
	.byte	0                               ; 0x0
	.size	__hip_cuid_6bc7c21b91e00fd6, 1

	.ident	"AMD clang version 19.0.0git (https://github.com/RadeonOpenCompute/llvm-project roc-6.4.0 25133 c7fe45cf4b819c5991fe208aaa96edf142730f1d)"
	.section	".note.GNU-stack","",@progbits
	.addrsig
	.addrsig_sym __hip_cuid_6bc7c21b91e00fd6
	.amdgpu_metadata
---
amdhsa.kernels:
  - .args:
      - .actual_access:  read_only
        .address_space:  global
        .offset:         0
        .size:           8
        .value_kind:     global_buffer
      - .offset:         8
        .size:           8
        .value_kind:     by_value
      - .actual_access:  read_only
        .address_space:  global
        .offset:         16
        .size:           8
        .value_kind:     global_buffer
      - .actual_access:  read_only
        .address_space:  global
        .offset:         24
        .size:           8
        .value_kind:     global_buffer
      - .offset:         32
        .size:           8
        .value_kind:     by_value
      - .actual_access:  read_only
        .address_space:  global
        .offset:         40
        .size:           8
        .value_kind:     global_buffer
      - .actual_access:  read_only
        .address_space:  global
        .offset:         48
        .size:           8
        .value_kind:     global_buffer
      - .offset:         56
        .size:           4
        .value_kind:     by_value
      - .actual_access:  read_only
        .address_space:  global
        .offset:         64
        .size:           8
        .value_kind:     global_buffer
      - .actual_access:  read_only
        .address_space:  global
        .offset:         72
        .size:           8
        .value_kind:     global_buffer
      - .address_space:  global
        .offset:         80
        .size:           8
        .value_kind:     global_buffer
    .group_segment_fixed_size: 0
    .kernarg_segment_align: 8
    .kernarg_segment_size: 88
    .language:       OpenCL C
    .language_version:
      - 2
      - 0
    .max_flat_workgroup_size: 245
    .name:           fft_rtc_fwd_len1715_factors_5_7_7_7_wgs_245_tpt_245_halfLds_sp_ip_CI_sbrr_dirReg
    .private_segment_fixed_size: 0
    .sgpr_count:     28
    .sgpr_spill_count: 0
    .symbol:         fft_rtc_fwd_len1715_factors_5_7_7_7_wgs_245_tpt_245_halfLds_sp_ip_CI_sbrr_dirReg.kd
    .uniform_work_group_size: 1
    .uses_dynamic_stack: false
    .vgpr_count:     36
    .vgpr_spill_count: 0
    .wavefront_size: 64
amdhsa.target:   amdgcn-amd-amdhsa--gfx906
amdhsa.version:
  - 1
  - 2
...

	.end_amdgpu_metadata
